;; amdgpu-corpus repo=ROCm/rocFFT kind=compiled arch=gfx906 opt=O3
	.text
	.amdgcn_target "amdgcn-amd-amdhsa--gfx906"
	.amdhsa_code_object_version 6
	.protected	fft_rtc_back_len1183_factors_7_13_13_wgs_182_tpt_91_halfLds_half_ip_CI_sbrr_dirReg ; -- Begin function fft_rtc_back_len1183_factors_7_13_13_wgs_182_tpt_91_halfLds_half_ip_CI_sbrr_dirReg
	.globl	fft_rtc_back_len1183_factors_7_13_13_wgs_182_tpt_91_halfLds_half_ip_CI_sbrr_dirReg
	.p2align	8
	.type	fft_rtc_back_len1183_factors_7_13_13_wgs_182_tpt_91_halfLds_half_ip_CI_sbrr_dirReg,@function
fft_rtc_back_len1183_factors_7_13_13_wgs_182_tpt_91_halfLds_half_ip_CI_sbrr_dirReg: ; @fft_rtc_back_len1183_factors_7_13_13_wgs_182_tpt_91_halfLds_half_ip_CI_sbrr_dirReg
; %bb.0:
	s_load_dwordx2 s[14:15], s[4:5], 0x18
	s_load_dwordx4 s[8:11], s[4:5], 0x0
	s_load_dwordx2 s[12:13], s[4:5], 0x50
	v_mul_u32_u24_e32 v1, 0x2d1, v0
	v_lshrrev_b32_e32 v9, 16, v1
	s_waitcnt lgkmcnt(0)
	s_load_dwordx2 s[2:3], s[14:15], 0x0
	v_cmp_lt_u64_e64 s[0:1], s[10:11], 2
	v_mov_b32_e32 v3, 0
	v_mov_b32_e32 v1, 0
	v_lshl_add_u32 v5, s6, 1, v9
	v_mov_b32_e32 v6, v3
	s_and_b64 vcc, exec, s[0:1]
	v_mov_b32_e32 v2, 0
	s_cbranch_vccnz .LBB0_8
; %bb.1:
	s_load_dwordx2 s[0:1], s[4:5], 0x10
	s_add_u32 s6, s14, 8
	s_addc_u32 s7, s15, 0
	v_mov_b32_e32 v1, 0
	v_mov_b32_e32 v2, 0
	s_waitcnt lgkmcnt(0)
	s_add_u32 s16, s0, 8
	s_addc_u32 s17, s1, 0
	s_mov_b64 s[18:19], 1
.LBB0_2:                                ; =>This Inner Loop Header: Depth=1
	s_load_dwordx2 s[20:21], s[16:17], 0x0
                                        ; implicit-def: $vgpr7_vgpr8
	s_waitcnt lgkmcnt(0)
	v_or_b32_e32 v4, s21, v6
	v_cmp_ne_u64_e32 vcc, 0, v[3:4]
	s_and_saveexec_b64 s[0:1], vcc
	s_xor_b64 s[22:23], exec, s[0:1]
	s_cbranch_execz .LBB0_4
; %bb.3:                                ;   in Loop: Header=BB0_2 Depth=1
	v_cvt_f32_u32_e32 v4, s20
	v_cvt_f32_u32_e32 v7, s21
	s_sub_u32 s0, 0, s20
	s_subb_u32 s1, 0, s21
	v_mac_f32_e32 v4, 0x4f800000, v7
	v_rcp_f32_e32 v4, v4
	v_mul_f32_e32 v4, 0x5f7ffffc, v4
	v_mul_f32_e32 v7, 0x2f800000, v4
	v_trunc_f32_e32 v7, v7
	v_mac_f32_e32 v4, 0xcf800000, v7
	v_cvt_u32_f32_e32 v7, v7
	v_cvt_u32_f32_e32 v4, v4
	v_mul_lo_u32 v8, s0, v7
	v_mul_hi_u32 v10, s0, v4
	v_mul_lo_u32 v12, s1, v4
	v_mul_lo_u32 v11, s0, v4
	v_add_u32_e32 v8, v10, v8
	v_add_u32_e32 v8, v8, v12
	v_mul_hi_u32 v10, v4, v11
	v_mul_lo_u32 v12, v4, v8
	v_mul_hi_u32 v14, v4, v8
	v_mul_hi_u32 v13, v7, v11
	v_mul_lo_u32 v11, v7, v11
	v_mul_hi_u32 v15, v7, v8
	v_add_co_u32_e32 v10, vcc, v10, v12
	v_addc_co_u32_e32 v12, vcc, 0, v14, vcc
	v_mul_lo_u32 v8, v7, v8
	v_add_co_u32_e32 v10, vcc, v10, v11
	v_addc_co_u32_e32 v10, vcc, v12, v13, vcc
	v_addc_co_u32_e32 v11, vcc, 0, v15, vcc
	v_add_co_u32_e32 v8, vcc, v10, v8
	v_addc_co_u32_e32 v10, vcc, 0, v11, vcc
	v_add_co_u32_e32 v4, vcc, v4, v8
	v_addc_co_u32_e32 v7, vcc, v7, v10, vcc
	v_mul_lo_u32 v8, s0, v7
	v_mul_hi_u32 v10, s0, v4
	v_mul_lo_u32 v11, s1, v4
	v_mul_lo_u32 v12, s0, v4
	v_add_u32_e32 v8, v10, v8
	v_add_u32_e32 v8, v8, v11
	v_mul_lo_u32 v13, v4, v8
	v_mul_hi_u32 v14, v4, v12
	v_mul_hi_u32 v15, v4, v8
	v_mul_hi_u32 v11, v7, v12
	v_mul_lo_u32 v12, v7, v12
	v_mul_hi_u32 v10, v7, v8
	v_add_co_u32_e32 v13, vcc, v14, v13
	v_addc_co_u32_e32 v14, vcc, 0, v15, vcc
	v_mul_lo_u32 v8, v7, v8
	v_add_co_u32_e32 v12, vcc, v13, v12
	v_addc_co_u32_e32 v11, vcc, v14, v11, vcc
	v_addc_co_u32_e32 v10, vcc, 0, v10, vcc
	v_add_co_u32_e32 v8, vcc, v11, v8
	v_addc_co_u32_e32 v10, vcc, 0, v10, vcc
	v_add_co_u32_e32 v4, vcc, v4, v8
	v_addc_co_u32_e32 v10, vcc, v7, v10, vcc
	v_mad_u64_u32 v[7:8], s[0:1], v5, v10, 0
	v_mul_hi_u32 v11, v5, v4
	v_add_co_u32_e32 v12, vcc, v11, v7
	v_addc_co_u32_e32 v13, vcc, 0, v8, vcc
	v_mad_u64_u32 v[7:8], s[0:1], v6, v4, 0
	v_mad_u64_u32 v[10:11], s[0:1], v6, v10, 0
	v_add_co_u32_e32 v4, vcc, v12, v7
	v_addc_co_u32_e32 v4, vcc, v13, v8, vcc
	v_addc_co_u32_e32 v7, vcc, 0, v11, vcc
	v_add_co_u32_e32 v4, vcc, v4, v10
	v_addc_co_u32_e32 v10, vcc, 0, v7, vcc
	v_mul_lo_u32 v11, s21, v4
	v_mul_lo_u32 v12, s20, v10
	v_mad_u64_u32 v[7:8], s[0:1], s20, v4, 0
	v_add3_u32 v8, v8, v12, v11
	v_sub_u32_e32 v11, v6, v8
	v_mov_b32_e32 v12, s21
	v_sub_co_u32_e32 v7, vcc, v5, v7
	v_subb_co_u32_e64 v11, s[0:1], v11, v12, vcc
	v_subrev_co_u32_e64 v12, s[0:1], s20, v7
	v_subbrev_co_u32_e64 v11, s[0:1], 0, v11, s[0:1]
	v_cmp_le_u32_e64 s[0:1], s21, v11
	v_cndmask_b32_e64 v13, 0, -1, s[0:1]
	v_cmp_le_u32_e64 s[0:1], s20, v12
	v_cndmask_b32_e64 v12, 0, -1, s[0:1]
	v_cmp_eq_u32_e64 s[0:1], s21, v11
	v_cndmask_b32_e64 v11, v13, v12, s[0:1]
	v_add_co_u32_e64 v12, s[0:1], 2, v4
	v_addc_co_u32_e64 v13, s[0:1], 0, v10, s[0:1]
	v_add_co_u32_e64 v14, s[0:1], 1, v4
	v_addc_co_u32_e64 v15, s[0:1], 0, v10, s[0:1]
	v_subb_co_u32_e32 v8, vcc, v6, v8, vcc
	v_cmp_ne_u32_e64 s[0:1], 0, v11
	v_cmp_le_u32_e32 vcc, s21, v8
	v_cndmask_b32_e64 v11, v15, v13, s[0:1]
	v_cndmask_b32_e64 v13, 0, -1, vcc
	v_cmp_le_u32_e32 vcc, s20, v7
	v_cndmask_b32_e64 v7, 0, -1, vcc
	v_cmp_eq_u32_e32 vcc, s21, v8
	v_cndmask_b32_e32 v7, v13, v7, vcc
	v_cmp_ne_u32_e32 vcc, 0, v7
	v_cndmask_b32_e64 v7, v14, v12, s[0:1]
	v_cndmask_b32_e32 v8, v10, v11, vcc
	v_cndmask_b32_e32 v7, v4, v7, vcc
.LBB0_4:                                ;   in Loop: Header=BB0_2 Depth=1
	s_andn2_saveexec_b64 s[0:1], s[22:23]
	s_cbranch_execz .LBB0_6
; %bb.5:                                ;   in Loop: Header=BB0_2 Depth=1
	v_cvt_f32_u32_e32 v4, s20
	s_sub_i32 s22, 0, s20
	v_rcp_iflag_f32_e32 v4, v4
	v_mul_f32_e32 v4, 0x4f7ffffe, v4
	v_cvt_u32_f32_e32 v4, v4
	v_mul_lo_u32 v7, s22, v4
	v_mul_hi_u32 v7, v4, v7
	v_add_u32_e32 v4, v4, v7
	v_mul_hi_u32 v4, v5, v4
	v_mul_lo_u32 v7, v4, s20
	v_add_u32_e32 v8, 1, v4
	v_sub_u32_e32 v7, v5, v7
	v_subrev_u32_e32 v10, s20, v7
	v_cmp_le_u32_e32 vcc, s20, v7
	v_cndmask_b32_e32 v7, v7, v10, vcc
	v_cndmask_b32_e32 v4, v4, v8, vcc
	v_add_u32_e32 v8, 1, v4
	v_cmp_le_u32_e32 vcc, s20, v7
	v_cndmask_b32_e32 v7, v4, v8, vcc
	v_mov_b32_e32 v8, v3
.LBB0_6:                                ;   in Loop: Header=BB0_2 Depth=1
	s_or_b64 exec, exec, s[0:1]
	v_mul_lo_u32 v4, v8, s20
	v_mul_lo_u32 v12, v7, s21
	v_mad_u64_u32 v[10:11], s[0:1], v7, s20, 0
	s_load_dwordx2 s[0:1], s[6:7], 0x0
	s_add_u32 s18, s18, 1
	v_add3_u32 v4, v11, v12, v4
	v_sub_co_u32_e32 v5, vcc, v5, v10
	v_subb_co_u32_e32 v4, vcc, v6, v4, vcc
	s_waitcnt lgkmcnt(0)
	v_mul_lo_u32 v4, s0, v4
	v_mul_lo_u32 v6, s1, v5
	v_mad_u64_u32 v[1:2], s[0:1], s0, v5, v[1:2]
	s_addc_u32 s19, s19, 0
	s_add_u32 s6, s6, 8
	v_add3_u32 v2, v6, v2, v4
	v_mov_b32_e32 v4, s10
	v_mov_b32_e32 v5, s11
	s_addc_u32 s7, s7, 0
	v_cmp_ge_u64_e32 vcc, s[18:19], v[4:5]
	s_add_u32 s16, s16, 8
	s_addc_u32 s17, s17, 0
	s_cbranch_vccnz .LBB0_9
; %bb.7:                                ;   in Loop: Header=BB0_2 Depth=1
	v_mov_b32_e32 v5, v7
	v_mov_b32_e32 v6, v8
	s_branch .LBB0_2
.LBB0_8:
	v_mov_b32_e32 v8, v6
	v_mov_b32_e32 v7, v5
.LBB0_9:
	s_lshl_b64 s[0:1], s[10:11], 3
	s_add_u32 s0, s14, s0
	s_addc_u32 s1, s15, s1
	s_load_dwordx2 s[6:7], s[0:1], 0x0
	s_load_dwordx2 s[10:11], s[4:5], 0x20
	v_mov_b32_e32 v11, 0
	v_mov_b32_e32 v26, 0
	;; [unrolled: 1-line block ×3, first 2 shown]
	s_waitcnt lgkmcnt(0)
	v_mad_u64_u32 v[4:5], s[0:1], s6, v7, v[1:2]
	s_mov_b32 s0, 0x2d02d03
	v_mul_lo_u32 v3, s6, v8
	v_mul_lo_u32 v6, s7, v7
	v_mul_hi_u32 v1, v0, s0
	v_cmp_gt_u64_e32 vcc, s[10:11], v[7:8]
	v_mov_b32_e32 v2, 0
	v_add3_u32 v5, v6, v5, v3
	v_mul_u32_u24_e32 v1, 0x5b, v1
	v_sub_u32_e32 v3, v0, v1
	v_lshlrev_b64 v[0:1], 2, v[4:5]
	v_mov_b32_e32 v15, 0
	v_mov_b32_e32 v20, 0
	;; [unrolled: 1-line block ×5, first 2 shown]
                                        ; implicit-def: $vgpr25
                                        ; implicit-def: $vgpr18
                                        ; implicit-def: $vgpr27
                                        ; implicit-def: $vgpr4
                                        ; implicit-def: $vgpr28
                                        ; implicit-def: $vgpr5
                                        ; implicit-def: $vgpr29
                                        ; implicit-def: $vgpr6
                                        ; implicit-def: $vgpr30
                                        ; implicit-def: $vgpr7
                                        ; implicit-def: $vgpr31
                                        ; implicit-def: $vgpr8
                                        ; implicit-def: $vgpr32
                                        ; implicit-def: $vgpr10
                                        ; implicit-def: $vgpr24
                                        ; implicit-def: $vgpr17
                                        ; implicit-def: $vgpr23
                                        ; implicit-def: $vgpr16
                                        ; implicit-def: $vgpr19
                                        ; implicit-def: $vgpr13
	s_and_saveexec_b64 s[4:5], vcc
	s_cbranch_execz .LBB0_13
; %bb.10:
	v_mad_u64_u32 v[4:5], s[0:1], s2, v3, 0
	v_add_u32_e32 v10, 0xa9, v3
	v_mov_b32_e32 v8, s13
	v_mov_b32_e32 v2, v5
	v_mad_u64_u32 v[5:6], s[0:1], s3, v3, v[2:3]
	v_mad_u64_u32 v[6:7], s[0:1], s2, v10, 0
	v_add_co_u32_e64 v2, s[0:1], s12, v0
	v_addc_co_u32_e64 v25, s[0:1], v8, v1, s[0:1]
	v_mad_u64_u32 v[7:8], s[0:1], s3, v10, v[7:8]
	v_add_u32_e32 v8, 0x152, v3
	v_mad_u64_u32 v[10:11], s[0:1], s2, v8, 0
	v_lshlrev_b64 v[4:5], 2, v[4:5]
	v_add_u32_e32 v16, 0x1fb, v3
	v_add_co_u32_e64 v12, s[0:1], v2, v4
	v_addc_co_u32_e64 v13, s[0:1], v25, v5, s[0:1]
	v_lshlrev_b64 v[4:5], 2, v[6:7]
	v_mov_b32_e32 v6, v11
	v_mad_u64_u32 v[6:7], s[0:1], s3, v8, v[6:7]
	v_mad_u64_u32 v[7:8], s[0:1], s2, v16, 0
	v_add_co_u32_e64 v14, s[0:1], v2, v4
	v_mov_b32_e32 v11, v6
	v_mov_b32_e32 v6, v8
	v_addc_co_u32_e64 v15, s[0:1], v25, v5, s[0:1]
	v_lshlrev_b64 v[4:5], 2, v[10:11]
	v_mad_u64_u32 v[10:11], s[0:1], s3, v16, v[6:7]
	v_add_u32_e32 v11, 0x2a4, v3
	v_mad_u64_u32 v[16:17], s[0:1], s2, v11, 0
	v_add_co_u32_e64 v19, s[0:1], v2, v4
	v_mov_b32_e32 v8, v10
	v_mov_b32_e32 v6, v17
	v_addc_co_u32_e64 v20, s[0:1], v25, v5, s[0:1]
	v_lshlrev_b64 v[4:5], 2, v[7:8]
	v_mad_u64_u32 v[6:7], s[0:1], s3, v11, v[6:7]
	v_add_u32_e32 v10, 0x34d, v3
	v_mad_u64_u32 v[7:8], s[0:1], s2, v10, 0
	v_add_co_u32_e64 v21, s[0:1], v2, v4
	v_mov_b32_e32 v17, v6
	v_mov_b32_e32 v6, v8
	v_addc_co_u32_e64 v22, s[0:1], v25, v5, s[0:1]
	v_mad_u64_u32 v[10:11], s[0:1], s3, v10, v[6:7]
	v_add_u32_e32 v11, 0x3f6, v3
	v_lshlrev_b64 v[4:5], 2, v[16:17]
	v_mad_u64_u32 v[16:17], s[0:1], s2, v11, 0
	v_add_co_u32_e64 v23, s[0:1], v2, v4
	v_mov_b32_e32 v8, v10
	v_mov_b32_e32 v6, v17
	v_addc_co_u32_e64 v24, s[0:1], v25, v5, s[0:1]
	v_lshlrev_b64 v[4:5], 2, v[7:8]
	v_mad_u64_u32 v[6:7], s[0:1], s3, v11, v[6:7]
	v_add_co_u32_e64 v26, s[0:1], v2, v4
	v_mov_b32_e32 v17, v6
	v_addc_co_u32_e64 v27, s[0:1], v25, v5, s[0:1]
	v_lshlrev_b64 v[4:5], 2, v[16:17]
	v_mov_b32_e32 v11, 0
	v_add_co_u32_e64 v16, s[0:1], v2, v4
	v_addc_co_u32_e64 v17, s[0:1], v25, v5, s[0:1]
	global_load_dword v18, v[12:13], off
	global_load_dword v4, v[14:15], off
	global_load_dword v5, v[19:20], off
	global_load_dword v6, v[21:22], off
	global_load_dword v7, v[23:24], off
	global_load_dword v8, v[26:27], off
	global_load_dword v10, v[16:17], off
	s_movk_i32 s0, 0x4e
	v_cmp_gt_u32_e64 s[0:1], s0, v3
	v_mov_b32_e32 v12, 0
	v_mov_b32_e32 v21, 0
	;; [unrolled: 1-line block ×7, first 2 shown]
                                        ; implicit-def: $vgpr13
                                        ; implicit-def: $vgpr19
                                        ; implicit-def: $vgpr16
                                        ; implicit-def: $vgpr23
                                        ; implicit-def: $vgpr17
                                        ; implicit-def: $vgpr24
	s_and_saveexec_b64 s[6:7], s[0:1]
	s_cbranch_execz .LBB0_12
; %bb.11:
	v_add_u32_e32 v15, 0x5b, v3
	v_add_u32_e32 v17, 0x104, v3
	v_mad_u64_u32 v[11:12], s[0:1], s2, v15, 0
	v_mad_u64_u32 v[13:14], s[0:1], s2, v17, 0
	v_add_u32_e32 v26, 0x3a8, v3
	v_mad_u64_u32 v[15:16], s[0:1], s3, v15, v[12:13]
	v_mov_b32_e32 v12, v15
	v_mad_u64_u32 v[14:15], s[0:1], s3, v17, v[14:15]
	v_add_u32_e32 v17, 0x1ad, v3
	v_mad_u64_u32 v[15:16], s[0:1], s2, v17, 0
	v_lshlrev_b64 v[11:12], 2, v[11:12]
	v_add_co_u32_e64 v19, s[0:1], v2, v11
	v_addc_co_u32_e64 v20, s[0:1], v25, v12, s[0:1]
	v_lshlrev_b64 v[11:12], 2, v[13:14]
	v_mov_b32_e32 v13, v16
	v_mad_u64_u32 v[13:14], s[0:1], s3, v17, v[13:14]
	v_add_u32_e32 v14, 0x256, v3
	v_mad_u64_u32 v[21:22], s[0:1], s2, v14, 0
	v_add_co_u32_e64 v23, s[0:1], v2, v11
	v_mov_b32_e32 v16, v13
	v_mov_b32_e32 v13, v22
	v_addc_co_u32_e64 v24, s[0:1], v25, v12, s[0:1]
	v_lshlrev_b64 v[11:12], 2, v[15:16]
	v_mad_u64_u32 v[13:14], s[0:1], s3, v14, v[13:14]
	v_add_u32_e32 v16, 0x2ff, v3
	v_mad_u64_u32 v[14:15], s[0:1], s2, v16, 0
	v_add_co_u32_e64 v27, s[0:1], v2, v11
	v_mov_b32_e32 v22, v13
	v_mov_b32_e32 v13, v15
	v_addc_co_u32_e64 v28, s[0:1], v25, v12, s[0:1]
	v_mad_u64_u32 v[15:16], s[0:1], s3, v16, v[13:14]
	v_mad_u64_u32 v[16:17], s[0:1], s2, v26, 0
	v_lshlrev_b64 v[11:12], 2, v[21:22]
	v_add_co_u32_e64 v21, s[0:1], v2, v11
	v_mov_b32_e32 v13, v17
	v_addc_co_u32_e64 v22, s[0:1], v25, v12, s[0:1]
	v_lshlrev_b64 v[11:12], 2, v[14:15]
	v_mad_u64_u32 v[13:14], s[0:1], s3, v26, v[13:14]
	v_add_u32_e32 v26, 0x451, v3
	v_mad_u64_u32 v[14:15], s[0:1], s2, v26, 0
	v_add_co_u32_e64 v29, s[0:1], v2, v11
	v_mov_b32_e32 v17, v13
	v_mov_b32_e32 v13, v15
	v_addc_co_u32_e64 v30, s[0:1], v25, v12, s[0:1]
	v_lshlrev_b64 v[11:12], 2, v[16:17]
	v_mad_u64_u32 v[15:16], s[0:1], s3, v26, v[13:14]
	v_add_co_u32_e64 v31, s[0:1], v2, v11
	v_addc_co_u32_e64 v32, s[0:1], v25, v12, s[0:1]
	v_lshlrev_b64 v[11:12], 2, v[14:15]
	v_add_co_u32_e64 v33, s[0:1], v2, v11
	v_addc_co_u32_e64 v34, s[0:1], v25, v12, s[0:1]
	global_load_dword v26, v[19:20], off
	global_load_dword v15, v[23:24], off
	;; [unrolled: 1-line block ×7, first 2 shown]
	s_waitcnt vmcnt(6)
	v_lshrrev_b32_e32 v11, 16, v26
	s_waitcnt vmcnt(5)
	v_lshrrev_b32_e32 v22, 16, v15
	;; [unrolled: 2-line block ×7, first 2 shown]
.LBB0_12:
	s_or_b64 exec, exec, s[6:7]
	s_waitcnt vmcnt(6)
	v_lshrrev_b32_e32 v25, 16, v18
	s_waitcnt vmcnt(5)
	v_lshrrev_b32_e32 v27, 16, v4
	;; [unrolled: 2-line block ×7, first 2 shown]
	v_mov_b32_e32 v2, v3
.LBB0_13:
	s_or_b64 exec, exec, s[4:5]
	v_and_b32_e32 v9, 1, v9
	v_mov_b32_e32 v33, 0x49f
	v_cmp_eq_u32_e64 s[0:1], 1, v9
	v_cndmask_b32_e64 v9, 0, v33, s[0:1]
	v_add_f16_e32 v33, v4, v10
	v_add_f16_e32 v35, v5, v8
	v_sub_f16_e32 v34, v27, v32
	v_sub_f16_e32 v36, v28, v31
	v_add_f16_e32 v37, v6, v7
	v_sub_f16_e32 v38, v30, v29
	v_add_f16_e32 v39, v35, v33
	v_sub_f16_e32 v40, v35, v33
	v_sub_f16_e32 v33, v33, v37
	;; [unrolled: 1-line block ×3, first 2 shown]
	v_add_f16_e32 v41, v38, v36
	v_sub_f16_e32 v42, v38, v36
	v_sub_f16_e32 v36, v36, v34
	v_add_f16_e32 v37, v37, v39
	v_sub_f16_e32 v38, v34, v38
	v_add_f16_e32 v34, v41, v34
	v_add_f16_e32 v39, v37, v18
	v_mul_f16_e32 v18, 0x3a52, v33
	s_movk_i32 s7, 0x2b26
	v_mul_f16_e32 v33, 0x2b26, v35
	v_mul_f16_e32 v41, 0x3846, v42
	s_mov_b32 s6, 0xbb00
	v_mul_f16_e32 v42, 0xbb00, v36
	s_mov_b32 s10, 0xbcab
	s_movk_i32 s11, 0x39e0
	s_mov_b32 s14, 0xb9e0
	s_mov_b32 s15, 0xb574
	s_movk_i32 s17, 0x3574
	v_fma_f16 v37, v37, s10, v39
	v_fma_f16 v35, v35, s7, v18
	v_fma_f16 v33, v40, s11, -v33
	v_fma_f16 v18, v40, s14, -v18
	v_fma_f16 v40, v38, s15, v41
	v_fma_f16 v36, v36, s6, -v41
	v_fma_f16 v38, v38, s17, -v42
	s_mov_b32 s16, 0xb70e
	v_add_f16_e32 v35, v35, v37
	v_add_f16_e32 v33, v33, v37
	v_add_f16_e32 v18, v18, v37
	v_fma_f16 v37, v34, s16, v40
	v_fma_f16 v36, v34, s16, v36
	;; [unrolled: 1-line block ×3, first 2 shown]
	v_add_f16_e32 v40, v37, v35
	v_add_f16_e32 v41, v34, v18
	v_sub_f16_e32 v42, v33, v36
	v_add_f16_e32 v33, v36, v33
	v_sub_f16_e32 v34, v18, v34
	v_mad_u32_u24 v18, v3, 14, 0
	s_movk_i32 s0, 0x4e
	s_movk_i32 s18, 0x3a52
	v_sub_f16_e32 v43, v35, v37
	v_lshl_add_u32 v35, v9, 1, v18
	v_pack_b32_f16 v38, v33, v34
	v_pack_b32_f16 v37, v41, v42
	;; [unrolled: 1-line block ×3, first 2 shown]
	v_cmp_gt_u32_e64 s[0:1], s0, v3
	ds_write_b96 v35, v[36:38]
	ds_write_b16 v35, v43 offset:12
	s_and_saveexec_b64 s[4:5], s[0:1]
	s_cbranch_execz .LBB0_15
; %bb.14:
	v_add_f16_e32 v33, v15, v17
	v_add_f16_e32 v38, v14, v16
	;; [unrolled: 1-line block ×4, first 2 shown]
	v_sub_f16_e32 v36, v33, v34
	v_sub_f16_e32 v39, v34, v38
	v_add_f16_e32 v34, v40, v34
	v_sub_f16_e32 v40, v22, v24
	v_sub_f16_e32 v41, v21, v19
	;; [unrolled: 1-line block ×5, first 2 shown]
	v_add_f16_e32 v41, v43, v41
	v_sub_f16_e32 v33, v38, v33
	v_sub_f16_e32 v38, v43, v40
	v_mul_f16_e32 v37, 0x3a52, v36
	v_mul_f16_e32 v39, 0x2b26, v39
	v_add_f16_e32 v26, v26, v34
	v_mul_f16_e32 v44, 0x3846, v44
	v_add_f16_e32 v41, v40, v41
	v_mul_f16_e32 v40, 0xbb00, v38
	v_fma_f16 v36, v36, s18, v39
	v_fma_f16 v34, v34, s10, v26
	;; [unrolled: 1-line block ×3, first 2 shown]
	v_fma_f16 v37, v33, s14, -v37
	v_fma_f16 v40, v42, s17, -v40
	;; [unrolled: 1-line block ×4, first 2 shown]
	v_add_f16_e32 v36, v36, v34
	v_fma_f16 v45, v41, s16, v45
	v_add_f16_e32 v37, v37, v34
	v_fma_f16 v40, v41, s16, v40
	v_fma_f16 v38, v41, s16, v38
	v_add_f16_e32 v33, v33, v34
	v_sub_f16_e32 v46, v36, v45
	v_sub_f16_e32 v42, v37, v40
	v_add_f16_e32 v34, v38, v33
	v_sub_f16_e32 v33, v33, v38
	v_add_f16_e32 v37, v40, v37
	v_add_f16_e32 v36, v45, v36
	v_pack_b32_f16 v38, v34, v42
	v_pack_b32_f16 v37, v37, v33
	;; [unrolled: 1-line block ×3, first 2 shown]
	ds_write_b96 v35, v[36:38] offset:1274
	ds_write_b16 v35, v46 offset:1286
.LBB0_15:
	s_or_b64 exec, exec, s[4:5]
	v_add_f16_e32 v26, v27, v32
	v_sub_f16_e32 v4, v4, v10
	v_add_f16_e32 v10, v28, v31
	v_sub_f16_e32 v5, v5, v8
	;; [unrolled: 2-line block ×4, first 2 shown]
	v_sub_f16_e32 v26, v26, v8
	v_sub_f16_e32 v10, v8, v10
	v_add_f16_e32 v28, v6, v5
	v_sub_f16_e32 v29, v6, v5
	v_sub_f16_e32 v5, v5, v4
	v_add_f16_e32 v7, v8, v7
	v_sub_f16_e32 v6, v4, v6
	v_add_f16_e32 v4, v28, v4
	v_add_f16_e32 v8, v7, v25
	v_mul_f16_e32 v25, 0x3a52, v26
	v_mul_f16_e32 v26, 0x2b26, v10
	;; [unrolled: 1-line block ×4, first 2 shown]
	v_fma_f16 v7, v7, s10, v8
	v_fma_f16 v10, v10, s7, v25
	v_fma_f16 v26, v27, s11, -v26
	v_fma_f16 v25, v27, s14, -v25
	v_fma_f16 v27, v6, s15, v28
	v_fma_f16 v5, v5, s6, -v28
	v_fma_f16 v6, v6, s17, -v29
	v_add_f16_e32 v10, v10, v7
	v_add_f16_e32 v26, v26, v7
	;; [unrolled: 1-line block ×3, first 2 shown]
	v_fma_f16 v25, v4, s16, v27
	v_fma_f16 v5, v4, s16, v5
	;; [unrolled: 1-line block ×3, first 2 shown]
	v_sub_f16_e32 v37, v7, v4
	v_add_f16_e32 v7, v4, v7
	v_lshlrev_b32_e32 v6, 1, v9
	v_lshlrev_b32_e32 v4, 1, v3
	v_add_f16_e32 v39, v5, v26
	v_sub_f16_e32 v38, v26, v5
	v_add3_u32 v5, 0, v6, v4
	v_mul_i32_i24_e32 v4, -12, v3
	v_sub_f16_e32 v36, v10, v25
	v_add_f16_e32 v40, v25, v10
	s_waitcnt lgkmcnt(0)
	s_barrier
	v_add3_u32 v4, v18, v4, v6
	ds_read_u16 v9, v5
	ds_read_u16 v34, v4 offset:182
	ds_read_u16 v33, v4 offset:364
	;; [unrolled: 1-line block ×12, first 2 shown]
	v_pack_b32_f16 v38, v38, v7
	v_pack_b32_f16 v37, v37, v39
	v_pack_b32_f16 v36, v8, v36
	s_waitcnt lgkmcnt(0)
	s_barrier
	ds_write_b96 v35, v[36:38]
	ds_write_b16 v35, v40 offset:12
	s_and_saveexec_b64 s[4:5], s[0:1]
	s_cbranch_execz .LBB0_17
; %bb.16:
	v_add_f16_e32 v7, v22, v24
	v_sub_f16_e32 v8, v15, v17
	v_add_f16_e32 v15, v20, v23
	v_sub_f16_e32 v14, v14, v16
	;; [unrolled: 2-line block ×4, first 2 shown]
	v_sub_f16_e32 v15, v16, v15
	v_sub_f16_e32 v7, v7, v16
	s_movk_i32 s0, 0x3a52
	v_mul_f16_e32 v15, 0x2b26, v15
	v_add_f16_e32 v13, v13, v16
	v_mul_f16_e32 v16, 0x3a52, v7
	v_fma_f16 v7, v7, s0, v15
	s_movk_i32 s0, 0x39e0
	v_add_f16_e32 v19, v14, v12
	v_sub_f16_e32 v20, v12, v14
	v_fma_f16 v15, v17, s0, -v15
	s_mov_b32 s0, 0xb9e0
	v_sub_f16_e32 v12, v8, v12
	v_sub_f16_e32 v14, v14, v8
	v_add_f16_e32 v8, v8, v19
	v_mul_f16_e32 v19, 0x3846, v20
	v_fma_f16 v16, v17, s0, -v16
	s_mov_b32 s0, 0xb574
	v_add_f16_e32 v11, v11, v13
	s_mov_b32 s1, 0xbb00
	v_mul_f16_e32 v20, 0xbb00, v14
	s_mov_b32 s6, 0xbcab
	v_fma_f16 v17, v12, s0, v19
	s_movk_i32 s0, 0x3574
	v_fma_f16 v13, v13, s6, v11
	v_fma_f16 v14, v14, s1, -v19
	v_fma_f16 v12, v12, s0, -v20
	s_mov_b32 s0, 0xb70e
	v_add_f16_e32 v7, v7, v13
	v_add_f16_e32 v15, v15, v13
	;; [unrolled: 1-line block ×3, first 2 shown]
	v_fma_f16 v16, v8, s0, v17
	v_fma_f16 v14, v8, s0, v14
	;; [unrolled: 1-line block ×3, first 2 shown]
	v_sub_f16_e32 v12, v13, v8
	v_add_f16_e32 v8, v13, v8
	v_add_u32_e32 v13, 0x5b, v3
	v_sub_f16_e32 v17, v7, v16
	v_add_f16_e32 v19, v15, v14
	v_sub_f16_e32 v14, v15, v14
	v_mul_u32_u24_e32 v13, 14, v13
	v_add3_u32 v15, 0, v13, v6
	v_pack_b32_f16 v13, v14, v8
	v_pack_b32_f16 v12, v12, v19
	;; [unrolled: 1-line block ×3, first 2 shown]
	v_add_f16_e32 v7, v7, v16
	ds_write_b96 v15, v[11:13]
	ds_write_b16 v15, v7 offset:12
.LBB0_17:
	s_or_b64 exec, exec, s[4:5]
	v_mov_b32_e32 v7, 37
	v_mul_lo_u16_sdwa v7, v3, v7 dst_sel:DWORD dst_unused:UNUSED_PAD src0_sel:BYTE_0 src1_sel:DWORD
	v_sub_u16_sdwa v8, v3, v7 dst_sel:DWORD dst_unused:UNUSED_PAD src0_sel:DWORD src1_sel:BYTE_1
	v_lshrrev_b16_e32 v8, 1, v8
	v_and_b32_e32 v8, 0x7f, v8
	v_add_u16_sdwa v7, v8, v7 dst_sel:DWORD dst_unused:UNUSED_PAD src0_sel:DWORD src1_sel:BYTE_1
	v_lshrrev_b16_e32 v7, 2, v7
	v_mul_lo_u16_e32 v8, 7, v7
	v_sub_u16_e32 v8, v3, v8
	v_mov_b32_e32 v11, 12
	v_mul_u32_u24_sdwa v11, v8, v11 dst_sel:DWORD dst_unused:UNUSED_PAD src0_sel:BYTE_0 src1_sel:DWORD
	v_lshlrev_b32_e32 v15, 2, v11
	s_waitcnt lgkmcnt(0)
	s_barrier
	global_load_dwordx4 v[11:14], v15, s[8:9]
	global_load_dwordx4 v[19:22], v15, s[8:9] offset:16
	global_load_dwordx4 v[35:38], v15, s[8:9] offset:32
	ds_read_u16 v15, v5
	ds_read_u16 v16, v4 offset:182
	ds_read_u16 v17, v4 offset:364
	;; [unrolled: 1-line block ×12, first 2 shown]
	s_movk_i32 s0, 0x3b15
	s_movk_i32 s1, 0x388b
	;; [unrolled: 1-line block ×3, first 2 shown]
	s_mov_b32 s5, 0xb5ac
	s_mov_b32 s6, 0xb9fd
	;; [unrolled: 1-line block ×4, first 2 shown]
	s_movk_i32 s18, 0x3770
	s_mov_b32 s11, 0xba95
	s_movk_i32 s20, 0x3a95
	s_mov_b32 s14, 0xbbf1
	;; [unrolled: 2-line block ×5, first 2 shown]
	s_movk_i32 s23, 0x33a8
	s_movk_i32 s24, 0xb6
	v_mad_u32_u24 v7, v7, s24, 0
	s_waitcnt vmcnt(0) lgkmcnt(0)
	s_barrier
	v_mul_f16_sdwa v47, v16, v11 dst_sel:DWORD dst_unused:UNUSED_PAD src0_sel:DWORD src1_sel:WORD_1
	v_mul_f16_sdwa v48, v34, v11 dst_sel:DWORD dst_unused:UNUSED_PAD src0_sel:DWORD src1_sel:WORD_1
	v_mul_f16_sdwa v49, v17, v12 dst_sel:DWORD dst_unused:UNUSED_PAD src0_sel:DWORD src1_sel:WORD_1
	v_mul_f16_sdwa v50, v33, v12 dst_sel:DWORD dst_unused:UNUSED_PAD src0_sel:DWORD src1_sel:WORD_1
	v_mul_f16_sdwa v51, v23, v13 dst_sel:DWORD dst_unused:UNUSED_PAD src0_sel:DWORD src1_sel:WORD_1
	v_mul_f16_sdwa v52, v32, v13 dst_sel:DWORD dst_unused:UNUSED_PAD src0_sel:DWORD src1_sel:WORD_1
	v_mul_f16_sdwa v53, v24, v14 dst_sel:DWORD dst_unused:UNUSED_PAD src0_sel:DWORD src1_sel:WORD_1
	v_mul_f16_sdwa v65, v44, v36 dst_sel:DWORD dst_unused:UNUSED_PAD src0_sel:DWORD src1_sel:WORD_1
	v_mul_f16_sdwa v66, v25, v36 dst_sel:DWORD dst_unused:UNUSED_PAD src0_sel:DWORD src1_sel:WORD_1
	v_fma_f16 v34, v34, v11, v47
	v_fma_f16 v11, v16, v11, -v48
	v_mul_f16_sdwa v54, v31, v14 dst_sel:DWORD dst_unused:UNUSED_PAD src0_sel:DWORD src1_sel:WORD_1
	v_mul_f16_sdwa v55, v39, v19 dst_sel:DWORD dst_unused:UNUSED_PAD src0_sel:DWORD src1_sel:WORD_1
	;; [unrolled: 1-line block ×4, first 2 shown]
	v_fma_f16 v16, v33, v12, v49
	v_fma_f16 v12, v17, v12, -v50
	v_fma_f16 v17, v32, v13, v51
	v_fma_f16 v13, v23, v13, -v52
	v_fma_f16 v23, v31, v14, v53
	v_fma_f16 v25, v25, v36, v65
	v_fma_f16 v31, v44, v36, -v66
	v_add_f16_e32 v36, v15, v11
	v_mul_f16_sdwa v56, v30, v19 dst_sel:DWORD dst_unused:UNUSED_PAD src0_sel:DWORD src1_sel:WORD_1
	v_fma_f16 v14, v24, v14, -v54
	v_fma_f16 v24, v30, v19, v55
	v_fma_f16 v26, v26, v35, v63
	v_fma_f16 v30, v43, v35, -v64
	v_add_f16_e32 v35, v9, v34
	v_add_f16_e32 v36, v36, v12
	;; [unrolled: 1-line block ×4, first 2 shown]
	v_mul_f16_sdwa v57, v40, v20 dst_sel:DWORD dst_unused:UNUSED_PAD src0_sel:DWORD src1_sel:WORD_1
	v_mul_f16_sdwa v58, v29, v20 dst_sel:DWORD dst_unused:UNUSED_PAD src0_sel:DWORD src1_sel:WORD_1
	v_fma_f16 v19, v39, v19, -v56
	v_add_f16_e32 v35, v35, v17
	v_add_f16_e32 v36, v36, v14
	v_mul_f16_sdwa v59, v41, v21 dst_sel:DWORD dst_unused:UNUSED_PAD src0_sel:DWORD src1_sel:WORD_1
	v_mul_f16_sdwa v60, v28, v21 dst_sel:DWORD dst_unused:UNUSED_PAD src0_sel:DWORD src1_sel:WORD_1
	v_fma_f16 v29, v29, v20, v57
	v_fma_f16 v20, v40, v20, -v58
	v_add_f16_e32 v35, v35, v23
	v_add_f16_e32 v36, v36, v19
	v_mul_f16_sdwa v61, v42, v22 dst_sel:DWORD dst_unused:UNUSED_PAD src0_sel:DWORD src1_sel:WORD_1
	v_mul_f16_sdwa v62, v27, v22 dst_sel:DWORD dst_unused:UNUSED_PAD src0_sel:DWORD src1_sel:WORD_1
	v_fma_f16 v28, v28, v21, v59
	v_fma_f16 v21, v41, v21, -v60
	v_add_f16_e32 v35, v35, v24
	v_add_f16_e32 v36, v36, v20
	v_fma_f16 v27, v27, v22, v61
	v_fma_f16 v22, v42, v22, -v62
	v_add_f16_e32 v35, v35, v29
	v_add_f16_e32 v36, v36, v21
	;; [unrolled: 1-line block ×4, first 2 shown]
	v_mul_f16_sdwa v68, v18, v37 dst_sel:DWORD dst_unused:UNUSED_PAD src0_sel:DWORD src1_sel:WORD_1
	v_mul_f16_sdwa v70, v10, v38 dst_sel:DWORD dst_unused:UNUSED_PAD src0_sel:DWORD src1_sel:WORD_1
	v_add_f16_e32 v35, v35, v27
	v_add_f16_e32 v36, v36, v30
	v_mul_f16_sdwa v67, v45, v37 dst_sel:DWORD dst_unused:UNUSED_PAD src0_sel:DWORD src1_sel:WORD_1
	v_mul_f16_sdwa v69, v46, v38 dst_sel:DWORD dst_unused:UNUSED_PAD src0_sel:DWORD src1_sel:WORD_1
	v_fma_f16 v32, v45, v37, -v68
	v_fma_f16 v33, v46, v38, -v70
	v_add_f16_e32 v35, v35, v26
	v_add_f16_e32 v36, v36, v31
	v_fma_f16 v18, v18, v37, v67
	v_fma_f16 v10, v10, v38, v69
	v_add_f16_e32 v38, v11, v33
	v_add_f16_e32 v35, v35, v25
	;; [unrolled: 1-line block ×3, first 2 shown]
	v_sub_f16_e32 v11, v11, v33
	v_add_f16_e32 v37, v34, v10
	v_add_f16_e32 v35, v35, v18
	;; [unrolled: 1-line block ×3, first 2 shown]
	v_mul_f16_e32 v33, 0xb770, v11
	v_mul_f16_e32 v39, 0xba95, v11
	;; [unrolled: 1-line block ×6, first 2 shown]
	v_add_f16_e32 v35, v35, v10
	v_sub_f16_e32 v10, v34, v10
	v_fma_f16 v34, v37, s0, v33
	v_fma_f16 v33, v37, s0, -v33
	v_fma_f16 v40, v37, s1, v39
	v_fma_f16 v39, v37, s1, -v39
	;; [unrolled: 2-line block ×6, first 2 shown]
	v_add_f16_e32 v34, v9, v34
	v_add_f16_e32 v33, v9, v33
	;; [unrolled: 1-line block ×12, first 2 shown]
	v_mul_f16_e32 v11, 0x3b15, v38
	v_mul_f16_e32 v48, 0x388b, v38
	;; [unrolled: 1-line block ×6, first 2 shown]
	v_fma_f16 v47, v10, s18, v11
	v_fma_f16 v11, v10, s10, v11
	;; [unrolled: 1-line block ×12, first 2 shown]
	v_add_f16_e32 v38, v15, v47
	v_add_f16_e32 v11, v15, v11
	;; [unrolled: 1-line block ×13, first 2 shown]
	v_sub_f16_e32 v16, v16, v18
	v_add_f16_e32 v18, v12, v32
	v_sub_f16_e32 v12, v12, v32
	v_mul_f16_e32 v32, 0xba95, v12
	v_fma_f16 v56, v15, s1, v32
	v_add_f16_e32 v34, v56, v34
	v_mul_f16_e32 v56, 0x388b, v18
	v_fma_f16 v32, v15, s1, -v32
	v_add_f16_e32 v32, v32, v33
	v_fma_f16 v33, v16, s11, v56
	v_add_f16_e32 v11, v33, v11
	v_mul_f16_e32 v33, 0xbb7b, v12
	v_fma_f16 v57, v16, s20, v56
	v_fma_f16 v56, v15, s5, v33
	v_add_f16_e32 v37, v56, v37
	v_mul_f16_e32 v56, 0xb5ac, v18
	v_fma_f16 v33, v15, s5, -v33
	v_add_f16_e32 v33, v33, v39
	v_fma_f16 v39, v16, s15, v56
	v_add_f16_e32 v39, v39, v48
	v_mul_f16_e32 v48, 0xb3a8, v12
	v_add_f16_e32 v38, v57, v38
	v_fma_f16 v57, v16, s19, v56
	v_fma_f16 v56, v15, s7, v48
	v_add_f16_e32 v40, v56, v40
	v_mul_f16_e32 v56, 0xbbc4, v18
	v_fma_f16 v48, v15, s7, -v48
	v_add_f16_e32 v41, v48, v41
	v_fma_f16 v48, v16, s17, v56
	v_add_f16_e32 v48, v48, v50
	v_mul_f16_e32 v50, 0x394e, v12
	v_add_f16_e32 v47, v57, v47
	;; [unrolled: 10-line block ×3, first 2 shown]
	v_fma_f16 v57, v16, s16, v56
	v_fma_f16 v56, v15, s4, v52
	v_add_f16_e32 v44, v56, v44
	v_mul_f16_e32 v56, 0x2fb7, v18
	v_fma_f16 v52, v15, s4, -v52
	v_add_f16_e32 v45, v52, v45
	v_fma_f16 v52, v16, s21, v56
	v_mul_f16_e32 v12, 0x3770, v12
	v_add_f16_e32 v52, v52, v54
	v_fma_f16 v54, v15, s0, v12
	v_mul_f16_e32 v18, 0x3b15, v18
	v_fma_f16 v12, v15, s0, -v12
	v_add_f16_e32 v51, v57, v51
	v_fma_f16 v57, v16, s14, v56
	v_add_f16_e32 v46, v54, v46
	v_fma_f16 v54, v16, s10, v18
	;; [unrolled: 2-line block ×3, first 2 shown]
	v_add_f16_e32 v16, v13, v31
	v_add_f16_e32 v10, v12, v10
	;; [unrolled: 1-line block ×3, first 2 shown]
	v_sub_f16_e32 v15, v17, v25
	v_sub_f16_e32 v13, v13, v31
	v_mul_f16_e32 v25, 0x2fb7, v16
	v_mul_f16_e32 v17, 0xbbf1, v13
	v_fma_f16 v31, v15, s21, v25
	v_fma_f16 v25, v15, s14, v25
	;; [unrolled: 1-line block ×3, first 2 shown]
	v_fma_f16 v17, v12, s4, -v17
	v_add_f16_e32 v11, v25, v11
	v_mul_f16_e32 v25, 0xb3a8, v13
	v_add_f16_e32 v18, v18, v34
	v_add_f16_e32 v17, v17, v32
	v_fma_f16 v32, v12, s7, v25
	v_mul_f16_e32 v34, 0xbbc4, v16
	v_fma_f16 v25, v12, s7, -v25
	v_add_f16_e32 v32, v32, v37
	v_fma_f16 v37, v15, s23, v34
	v_add_f16_e32 v25, v25, v33
	v_fma_f16 v33, v15, s17, v34
	v_mul_f16_e32 v34, 0x3b7b, v13
	v_add_f16_e32 v31, v31, v38
	v_fma_f16 v38, v12, s5, v34
	v_fma_f16 v34, v12, s5, -v34
	v_add_f16_e32 v34, v34, v41
	v_mul_f16_e32 v41, 0x3770, v13
	v_add_f16_e32 v37, v37, v47
	v_add_f16_e32 v33, v33, v39
	v_mul_f16_e32 v39, 0xb5ac, v16
	v_fma_f16 v47, v12, s0, v41
	v_add_f16_e32 v38, v38, v40
	v_fma_f16 v40, v15, s15, v39
	v_fma_f16 v39, v15, s19, v39
	v_add_f16_e32 v42, v47, v42
	v_mul_f16_e32 v47, 0x3b15, v16
	v_fma_f16 v41, v12, s0, -v41
	v_add_f16_e32 v39, v39, v48
	v_fma_f16 v48, v15, s10, v47
	v_add_f16_e32 v41, v41, v43
	v_fma_f16 v43, v15, s18, v47
	v_mul_f16_e32 v47, 0xba95, v13
	v_add_f16_e32 v40, v40, v49
	v_fma_f16 v49, v12, s1, v47
	v_add_f16_e32 v44, v49, v44
	v_mul_f16_e32 v49, 0x388b, v16
	v_fma_f16 v47, v12, s1, -v47
	v_mul_f16_e32 v13, 0xb94e, v13
	v_add_f16_e32 v43, v43, v50
	v_fma_f16 v50, v15, s20, v49
	v_add_f16_e32 v45, v47, v45
	v_fma_f16 v47, v15, s11, v49
	v_fma_f16 v49, v12, s6, v13
	v_mul_f16_e32 v16, 0xb9fd, v16
	v_fma_f16 v12, v12, s6, -v13
	v_add_f16_e32 v46, v49, v46
	v_fma_f16 v49, v15, s22, v16
	v_add_f16_e32 v9, v12, v9
	v_fma_f16 v12, v15, s16, v16
	v_add_f16_e32 v15, v14, v30
	v_sub_f16_e32 v14, v14, v30
	v_add_f16_e32 v10, v12, v10
	v_add_f16_e32 v12, v23, v26
	v_mul_f16_e32 v16, 0xbb7b, v14
	v_sub_f16_e32 v13, v23, v26
	v_fma_f16 v23, v12, s5, v16
	v_add_f16_e32 v18, v23, v18
	v_mul_f16_e32 v23, 0xb5ac, v15
	v_fma_f16 v16, v12, s5, -v16
	v_add_f16_e32 v16, v16, v17
	v_fma_f16 v17, v13, s15, v23
	v_add_f16_e32 v11, v17, v11
	v_mul_f16_e32 v17, 0x394e, v14
	v_fma_f16 v26, v13, s19, v23
	v_fma_f16 v23, v12, s6, v17
	v_mul_f16_e32 v30, 0xb9fd, v15
	v_fma_f16 v17, v12, s6, -v17
	v_add_f16_e32 v26, v26, v31
	v_fma_f16 v31, v13, s16, v30
	v_add_f16_e32 v17, v17, v25
	v_fma_f16 v25, v13, s22, v30
	v_mul_f16_e32 v30, 0x3770, v14
	v_add_f16_e32 v23, v23, v32
	v_fma_f16 v32, v12, s0, v30
	v_fma_f16 v30, v12, s0, -v30
	v_add_f16_e32 v25, v25, v33
	v_mul_f16_e32 v33, 0x3b15, v15
	v_add_f16_e32 v30, v30, v34
	v_mul_f16_e32 v34, 0xbbf1, v14
	v_add_f16_e32 v31, v31, v37
	v_add_f16_e32 v32, v32, v38
	v_fma_f16 v37, v13, s10, v33
	v_fma_f16 v33, v13, s18, v33
	;; [unrolled: 1-line block ×3, first 2 shown]
	v_fma_f16 v34, v12, s4, -v34
	v_add_f16_e32 v33, v33, v39
	v_mul_f16_e32 v39, 0x2fb7, v15
	v_add_f16_e32 v34, v34, v41
	v_mul_f16_e32 v41, 0x33a8, v14
	v_add_f16_e32 v37, v37, v40
	v_add_f16_e32 v38, v38, v42
	v_fma_f16 v40, v13, s21, v39
	v_fma_f16 v39, v13, s14, v39
	;; [unrolled: 1-line block ×3, first 2 shown]
	v_fma_f16 v41, v12, s7, -v41
	v_mul_f16_e32 v14, 0x3a95, v14
	v_add_f16_e32 v39, v39, v43
	v_mul_f16_e32 v43, 0xbbc4, v15
	v_add_f16_e32 v41, v41, v45
	v_fma_f16 v45, v12, s1, v14
	v_mul_f16_e32 v15, 0x388b, v15
	v_fma_f16 v12, v12, s1, -v14
	v_add_f16_e32 v45, v45, v46
	v_fma_f16 v46, v13, s11, v15
	v_add_f16_e32 v9, v12, v9
	v_fma_f16 v12, v13, s20, v15
	v_sub_f16_e32 v15, v19, v22
	v_add_f16_e32 v42, v42, v44
	v_fma_f16 v44, v13, s17, v43
	v_fma_f16 v43, v13, s23, v43
	v_add_f16_e32 v10, v12, v10
	v_add_f16_e32 v12, v24, v27
	;; [unrolled: 1-line block ×3, first 2 shown]
	v_mul_f16_e32 v19, 0xb94e, v15
	v_fma_f16 v22, v12, s6, v19
	v_sub_f16_e32 v14, v24, v27
	v_add_f16_e32 v18, v22, v18
	v_mul_f16_e32 v22, 0xb9fd, v13
	v_fma_f16 v19, v12, s6, -v19
	v_add_f16_e32 v16, v19, v16
	v_fma_f16 v19, v14, s16, v22
	v_add_f16_e32 v11, v19, v11
	v_mul_f16_e32 v19, 0x3bf1, v15
	v_fma_f16 v24, v14, s22, v22
	v_fma_f16 v22, v12, s4, v19
	v_add_f16_e32 v22, v22, v23
	v_mul_f16_e32 v23, 0x2fb7, v13
	v_fma_f16 v19, v12, s4, -v19
	v_add_f16_e32 v24, v24, v26
	v_fma_f16 v26, v14, s14, v23
	v_add_f16_e32 v17, v19, v17
	v_fma_f16 v19, v14, s21, v23
	v_mul_f16_e32 v23, 0xba95, v15
	v_add_f16_e32 v19, v19, v25
	v_fma_f16 v25, v12, s1, v23
	v_fma_f16 v23, v12, s1, -v23
	v_mul_f16_e32 v27, 0x388b, v13
	v_add_f16_e32 v23, v23, v30
	v_mul_f16_e32 v30, 0x33a8, v15
	v_add_f16_e32 v26, v26, v31
	v_add_f16_e32 v25, v25, v32
	v_fma_f16 v31, v14, s20, v27
	v_fma_f16 v27, v14, s11, v27
	;; [unrolled: 1-line block ×3, first 2 shown]
	v_fma_f16 v30, v12, s7, -v30
	v_add_f16_e32 v27, v27, v33
	v_mul_f16_e32 v33, 0xbbc4, v13
	v_add_f16_e32 v30, v30, v34
	v_mul_f16_e32 v34, 0x3770, v15
	v_add_f16_e32 v31, v31, v37
	v_add_f16_e32 v32, v32, v38
	v_fma_f16 v37, v14, s17, v33
	v_fma_f16 v33, v14, s23, v33
	;; [unrolled: 1-line block ×3, first 2 shown]
	v_fma_f16 v34, v12, s0, -v34
	v_mul_f16_e32 v15, 0xbb7b, v15
	v_add_f16_e32 v33, v33, v39
	v_mul_f16_e32 v39, 0x3b15, v13
	v_add_f16_e32 v34, v34, v41
	v_fma_f16 v41, v12, s5, v15
	v_mul_f16_e32 v13, 0xb5ac, v13
	v_fma_f16 v12, v12, s5, -v15
	v_add_f16_e32 v9, v12, v9
	v_fma_f16 v12, v14, s15, v13
	v_sub_f16_e32 v15, v20, v21
	v_add_f16_e32 v48, v48, v51
	v_add_f16_e32 v38, v38, v42
	v_fma_f16 v42, v14, s19, v13
	v_add_f16_e32 v10, v12, v10
	v_add_f16_e32 v12, v29, v28
	;; [unrolled: 1-line block ×3, first 2 shown]
	v_mul_f16_e32 v20, 0xb3a8, v15
	v_add_f16_e32 v40, v40, v48
	v_fma_f16 v21, v12, s7, v20
	v_add_f16_e32 v37, v37, v40
	v_fma_f16 v40, v14, s10, v39
	v_fma_f16 v39, v14, s18, v39
	v_sub_f16_e32 v14, v29, v28
	v_add_f16_e32 v18, v21, v18
	v_mul_f16_e32 v21, 0xbbc4, v13
	v_fma_f16 v20, v12, s7, -v20
	v_add_f16_e32 v16, v20, v16
	v_fma_f16 v20, v14, s17, v21
	v_add_f16_e32 v20, v20, v11
	v_mul_f16_e32 v11, 0x3770, v15
	v_fma_f16 v28, v14, s23, v21
	v_fma_f16 v21, v12, s0, v11
	v_add_f16_e32 v21, v21, v22
	v_mul_f16_e32 v22, 0x3b15, v13
	v_fma_f16 v11, v12, s0, -v11
	v_add_f16_e32 v11, v11, v17
	v_fma_f16 v17, v14, s18, v22
	v_add_f16_e32 v19, v17, v19
	v_mul_f16_e32 v17, 0xb94e, v15
	v_add_f16_e32 v24, v28, v24
	v_fma_f16 v28, v14, s10, v22
	v_fma_f16 v22, v12, s6, v17
	v_add_f16_e32 v22, v22, v25
	v_mul_f16_e32 v25, 0xb9fd, v13
	v_fma_f16 v17, v12, s6, -v17
	v_add_f16_e32 v26, v28, v26
	v_fma_f16 v28, v14, s22, v25
	v_add_f16_e32 v17, v17, v23
	v_fma_f16 v23, v14, s16, v25
	v_mul_f16_e32 v25, 0x3a95, v15
	v_add_f16_e32 v23, v23, v27
	v_fma_f16 v27, v12, s1, v25
	v_fma_f16 v25, v12, s1, -v25
	v_mul_f16_e32 v29, 0x388b, v13
	v_add_f16_e32 v25, v25, v30
	v_mul_f16_e32 v30, 0xbb7b, v15
	v_add_f16_e32 v47, v47, v52
	v_add_f16_e32 v28, v28, v31
	;; [unrolled: 1-line block ×3, first 2 shown]
	v_fma_f16 v31, v14, s11, v29
	v_fma_f16 v29, v14, s20, v29
	;; [unrolled: 1-line block ×3, first 2 shown]
	v_fma_f16 v30, v12, s5, -v30
	v_mul_f16_e32 v15, 0x3bf1, v15
	v_add_f16_e32 v53, v57, v53
	v_add_f16_e32 v43, v43, v47
	v_add_f16_e32 v29, v29, v33
	v_mul_f16_e32 v33, 0xb5ac, v13
	v_add_f16_e32 v30, v30, v34
	v_fma_f16 v34, v12, s4, v15
	v_mul_f16_e32 v13, 0x2fb7, v13
	v_fma_f16 v12, v12, s4, -v15
	v_add_f16_e32 v50, v50, v53
	v_add_f16_e32 v39, v39, v43
	;; [unrolled: 1-line block ×3, first 2 shown]
	v_fma_f16 v37, v14, s19, v33
	v_fma_f16 v33, v14, s15, v33
	v_add_f16_e32 v9, v12, v9
	v_fma_f16 v12, v14, s21, v13
	v_add_f16_e32 v44, v44, v50
	v_add_f16_e32 v33, v33, v39
	;; [unrolled: 1-line block ×3, first 2 shown]
	v_mov_b32_e32 v10, 1
	v_add_f16_e32 v40, v40, v44
	v_lshlrev_b32_sdwa v8, v10, v8 dst_sel:DWORD dst_unused:UNUSED_PAD src0_sel:DWORD src1_sel:BYTE_0
	v_add_f16_e32 v41, v41, v45
	v_add_f16_e32 v37, v37, v40
	v_add3_u32 v40, v7, v8, v6
	v_add_f16_e32 v32, v32, v38
	v_add_f16_e32 v34, v34, v41
	v_fma_f16 v38, v14, s14, v13
	ds_write_b16 v40, v35
	ds_write_b16 v40, v18 offset:14
	ds_write_b16 v40, v21 offset:28
	;; [unrolled: 1-line block ×12, first 2 shown]
	s_waitcnt lgkmcnt(0)
	s_barrier
	ds_read_u16 v6, v5
	ds_read_u16 v15, v4 offset:182
	ds_read_u16 v13, v4 offset:364
	;; [unrolled: 1-line block ×12, first 2 shown]
	v_add_f16_e32 v54, v54, v55
	v_add_f16_e32 v49, v49, v54
	;; [unrolled: 1-line block ×5, first 2 shown]
	s_waitcnt lgkmcnt(0)
	s_barrier
	ds_write_b16 v40, v36
	ds_write_b16 v40, v24 offset:14
	ds_write_b16 v40, v26 offset:28
	;; [unrolled: 1-line block ×12, first 2 shown]
	s_waitcnt lgkmcnt(0)
	s_barrier
	s_and_saveexec_b64 s[24:25], vcc
	s_cbranch_execz .LBB0_19
; %bb.18:
	v_mul_u32_u24_e32 v3, 12, v3
	v_lshlrev_b32_e32 v3, 2, v3
	global_load_dwordx4 v[19:22], v3, s[8:9] offset:336
	global_load_dwordx4 v[23:26], v3, s[8:9] offset:368
	global_load_dwordx4 v[27:30], v3, s[8:9] offset:352
	ds_read_u16 v3, v4 offset:546
	ds_read_u16 v31, v4 offset:728
	;; [unrolled: 1-line block ×7, first 2 shown]
	ds_read_u16 v37, v5
	ds_read_u16 v5, v4 offset:2184
	ds_read_u16 v38, v4 offset:2002
	;; [unrolled: 1-line block ×5, first 2 shown]
	s_waitcnt vmcnt(2)
	v_lshrrev_b32_e32 v41, 16, v19
	v_mul_f16_e32 v45, v15, v19
	s_waitcnt vmcnt(1)
	v_lshrrev_b32_e32 v49, 16, v26
	v_mul_f16_e32 v50, v18, v26
	v_lshrrev_b32_e32 v42, 16, v20
	v_lshrrev_b32_e32 v46, 16, v23
	;; [unrolled: 1-line block ×4, first 2 shown]
	v_mul_f16_e32 v51, v13, v20
	v_mul_f16_e32 v52, v17, v25
	s_waitcnt lgkmcnt(4)
	v_fma_f16 v50, v5, v49, v50
	v_mul_f16_e32 v18, v18, v49
	v_fma_f16 v45, v36, v41, v45
	v_mul_f16_e32 v15, v15, v41
	v_lshrrev_b32_e32 v43, 16, v21
	v_mul_f16_e32 v53, v12, v21
	v_mul_f16_e32 v54, v16, v24
	;; [unrolled: 1-line block ×3, first 2 shown]
	s_waitcnt lgkmcnt(3)
	v_fma_f16 v41, v38, v48, v52
	v_mul_f16_e32 v17, v17, v48
	v_fma_f16 v48, v35, v42, v51
	v_mul_f16_e32 v13, v13, v42
	v_mul_f16_e32 v16, v16, v47
	;; [unrolled: 1-line block ×3, first 2 shown]
	v_sub_f16_e32 v51, v45, v50
	v_fma_f16 v18, v5, v26, -v18
	v_fma_f16 v15, v36, v19, -v15
	v_lshrrev_b32_e32 v44, 16, v22
	v_mul_f16_e32 v55, v10, v22
	s_waitcnt vmcnt(0)
	v_lshrrev_b32_e32 v60, 16, v30
	v_fma_f16 v42, v3, v43, v53
	s_waitcnt lgkmcnt(2)
	v_fma_f16 v49, v39, v47, v54
	v_mul_f16_e32 v12, v12, v43
	v_sub_f16_e32 v19, v48, v41
	v_fma_f16 v17, v38, v25, -v17
	v_fma_f16 v13, v35, v20, -v13
	;; [unrolled: 1-line block ×3, first 2 shown]
	s_waitcnt lgkmcnt(1)
	v_fma_f16 v14, v40, v23, -v14
	v_mul_f16_e32 v23, 0xba95, v51
	v_add_f16_e32 v24, v15, v18
	v_lshrrev_b32_e32 v57, 16, v27
	v_mul_f16_e32 v61, v9, v27
	v_mul_f16_e32 v62, v11, v30
	v_fma_f16 v43, v31, v44, v55
	v_fma_f16 v47, v40, v46, v56
	v_mul_f16_e32 v10, v10, v44
	v_mul_f16_e32 v11, v11, v60
	v_sub_f16_e32 v20, v42, v49
	v_fma_f16 v12, v3, v21, -v12
	v_mul_f16_e32 v25, 0xbb7b, v19
	v_add_f16_e32 v26, v13, v17
	v_fma_f16 v3, v24, s1, v23
	v_fma_f16 v44, v32, v57, v61
	s_waitcnt lgkmcnt(0)
	v_fma_f16 v46, v4, v60, v62
	v_mul_f16_e32 v9, v9, v57
	v_sub_f16_e32 v21, v43, v47
	v_fma_f16 v10, v31, v22, -v10
	v_fma_f16 v11, v4, v30, -v11
	v_mul_f16_e32 v30, 0xb3a8, v20
	v_add_f16_e32 v31, v12, v16
	v_fma_f16 v4, v26, s5, v25
	v_add_f16_e32 v3, v37, v3
	v_sub_f16_e32 v22, v44, v46
	v_mul_f16_e32 v35, 0x394e, v21
	v_add_f16_e32 v36, v10, v14
	v_fma_f16 v5, v31, s7, v30
	v_add_f16_e32 v3, v3, v4
	v_fma_f16 v9, v32, v27, -v9
	v_mul_f16_e32 v38, 0x3bf1, v22
	v_fma_f16 v39, v36, s6, v35
	v_add_f16_e32 v3, v3, v5
	v_add_f16_e32 v27, v9, v11
	;; [unrolled: 1-line block ×3, first 2 shown]
	v_fma_f16 v4, v27, s4, v38
	v_lshrrev_b32_e32 v58, 16, v28
	v_add_f16_e32 v3, v3, v4
	v_mul_f16_e32 v4, v7, v28
	v_lshrrev_b32_e32 v59, 16, v29
	v_fma_f16 v32, v33, v58, v4
	v_mul_f16_e32 v4, v8, v29
	v_fma_f16 v39, v34, v59, v4
	v_mul_f16_e32 v4, v8, v59
	v_fma_f16 v8, v34, v29, -v4
	v_mul_f16_e32 v4, v7, v58
	v_sub_f16_e32 v40, v32, v39
	v_fma_f16 v7, v33, v28, -v4
	v_mul_f16_e32 v52, 0x3770, v40
	v_add_f16_e32 v28, v7, v8
	v_sub_f16_e32 v33, v15, v18
	v_fma_f16 v4, v28, s0, v52
	v_add_f16_e32 v29, v45, v50
	v_mul_f16_e32 v34, 0xba95, v33
	v_sub_f16_e32 v54, v13, v17
	v_add_f16_e32 v3, v3, v4
	v_fma_f16 v4, v29, s1, -v34
	v_add_f16_e32 v53, v48, v41
	v_mul_f16_e32 v55, 0xbb7b, v54
	v_sub_f16_e32 v57, v12, v16
	v_add_f16_e32 v4, v6, v4
	v_fma_f16 v5, v53, s5, -v55
	;; [unrolled: 5-line block ×5, first 2 shown]
	v_add_f16_e32 v65, v32, v39
	v_mul_f16_e32 v67, 0x3770, v66
	v_add_f16_e32 v4, v4, v5
	v_fma_f16 v5, v65, s0, -v67
	v_mul_f16_e32 v68, 0xbb7b, v51
	v_add_f16_e32 v4, v4, v5
	v_fma_f16 v5, v24, s5, v68
	v_mul_f16_e32 v69, 0x394e, v19
	v_add_f16_e32 v5, v37, v5
	v_fma_f16 v70, v26, s6, v69
	v_add_f16_e32 v5, v5, v70
	v_mul_f16_e32 v70, 0x3770, v20
	v_fma_f16 v71, v31, s0, v70
	v_add_f16_e32 v5, v5, v71
	v_mul_f16_e32 v71, 0xbbf1, v21
	;; [unrolled: 3-line block ×5, first 2 shown]
	v_fma_f16 v75, v29, s5, -v74
	v_mul_f16_e32 v76, 0x394e, v54
	v_add_f16_e32 v75, v6, v75
	v_fma_f16 v77, v53, s6, -v76
	v_add_f16_e32 v75, v75, v77
	v_mul_f16_e32 v77, 0x3770, v57
	v_fma_f16 v78, v56, s0, -v77
	v_add_f16_e32 v75, v75, v78
	v_mul_f16_e32 v78, 0xbbf1, v60
	;; [unrolled: 3-line block ×3, first 2 shown]
	v_fma_f16 v80, v62, s7, -v79
	v_fma_f16 v68, v24, s5, -v68
	v_add_f16_e32 v75, v75, v80
	v_mul_f16_e32 v80, 0x3a95, v66
	v_add_f16_e32 v68, v37, v68
	v_fma_f16 v69, v26, s6, -v69
	v_fma_f16 v81, v65, s1, -v80
	v_add_f16_e32 v68, v68, v69
	v_fma_f16 v69, v31, s0, -v70
	v_add_f16_e32 v75, v75, v81
	v_mul_f16_e32 v81, 0xb94e, v51
	v_add_f16_e32 v68, v68, v69
	v_fma_f16 v69, v36, s4, -v71
	v_fma_f16 v82, v24, s6, v81
	v_mul_f16_e32 v83, 0x3bf1, v19
	v_add_f16_e32 v68, v68, v69
	v_fma_f16 v69, v27, s7, -v72
	v_add_f16_e32 v82, v37, v82
	v_fma_f16 v84, v26, s4, v83
	v_add_f16_e32 v68, v68, v69
	v_fma_f16 v69, v28, s1, -v73
	v_add_f16_e32 v82, v82, v84
	v_mul_f16_e32 v84, 0xba95, v20
	v_add_f16_e32 v68, v68, v69
	v_fma_f16 v69, v29, s5, v74
	v_fma_f16 v85, v31, s1, v84
	v_add_f16_e32 v69, v6, v69
	v_fma_f16 v70, v53, s6, v76
	v_add_f16_e32 v82, v82, v85
	v_mul_f16_e32 v85, 0x33a8, v21
	v_add_f16_e32 v69, v69, v70
	v_fma_f16 v70, v56, s0, v77
	v_fma_f16 v86, v36, s7, v85
	v_add_f16_e32 v69, v69, v70
	v_fma_f16 v70, v59, s4, v78
	;; [unrolled: 7-line block ×3, first 2 shown]
	v_add_f16_e32 v15, v15, v37
	v_add_f16_e32 v82, v82, v87
	v_mul_f16_e32 v87, 0xbb7b, v40
	v_add_f16_e32 v69, v69, v70
	v_mul_f16_e32 v70, 0x2fb7, v24
	v_add_f16_e32 v13, v15, v13
	v_fma_f16 v88, v28, s5, v87
	v_fma_f16 v81, v24, s6, -v81
	v_fma_f16 v71, v51, s21, v70
	v_mul_f16_e32 v72, 0xbbc4, v26
	v_add_f16_e32 v12, v13, v12
	v_add_f16_e32 v82, v82, v88
	v_mul_f16_e32 v88, 0xb94e, v33
	v_add_f16_e32 v81, v37, v81
	v_fma_f16 v83, v26, s4, -v83
	v_add_f16_e32 v71, v37, v71
	v_fma_f16 v73, v19, s23, v72
	v_add_f16_e32 v10, v12, v10
	v_fma_f16 v89, v29, s6, -v88
	v_mul_f16_e32 v90, 0x3bf1, v54
	v_add_f16_e32 v81, v81, v83
	v_fma_f16 v83, v31, s1, -v84
	v_add_f16_e32 v71, v71, v73
	v_mul_f16_e32 v73, 0xb5ac, v31
	v_add_f16_e32 v9, v10, v9
	v_add_f16_e32 v89, v6, v89
	v_fma_f16 v91, v53, s4, -v90
	v_add_f16_e32 v81, v81, v83
	v_fma_f16 v83, v36, s7, -v85
	v_fma_f16 v74, v20, s15, v73
	v_add_f16_e32 v7, v9, v7
	v_add_f16_e32 v89, v89, v91
	v_mul_f16_e32 v91, 0xba95, v57
	v_add_f16_e32 v81, v81, v83
	v_fma_f16 v83, v27, s0, -v86
	v_add_f16_e32 v71, v71, v74
	v_mul_f16_e32 v74, 0x3b15, v36
	v_add_f16_e32 v7, v7, v8
	v_fma_f16 v92, v56, s1, -v91
	v_add_f16_e32 v81, v81, v83
	v_fma_f16 v83, v28, s5, -v87
	v_fma_f16 v76, v21, s10, v74
	v_add_f16_e32 v7, v11, v7
	v_add_f16_e32 v89, v89, v92
	v_mul_f16_e32 v92, 0x33a8, v60
	v_add_f16_e32 v81, v81, v83
	v_fma_f16 v83, v29, s6, v88
	v_add_f16_e32 v71, v71, v76
	v_mul_f16_e32 v76, 0x388b, v27
	v_add_f16_e32 v7, v14, v7
	v_fma_f16 v93, v59, s7, -v92
	v_add_f16_e32 v83, v6, v83
	v_fma_f16 v84, v53, s4, v90
	v_fma_f16 v77, v22, s20, v76
	v_fma_f16 v23, v24, s1, -v23
	v_add_f16_e32 v7, v16, v7
	v_add_f16_e32 v89, v89, v93
	v_mul_f16_e32 v93, 0x3770, v63
	v_add_f16_e32 v83, v83, v84
	v_fma_f16 v84, v56, s1, v91
	v_add_f16_e32 v71, v71, v77
	v_mul_f16_e32 v77, 0xb9fd, v28
	v_add_f16_e32 v23, v37, v23
	v_fma_f16 v25, v26, s5, -v25
	v_add_f16_e32 v7, v17, v7
	v_fma_f16 v94, v62, s0, -v93
	v_add_f16_e32 v83, v83, v84
	v_fma_f16 v84, v59, s7, v92
	v_fma_f16 v78, v40, s22, v77
	v_add_f16_e32 v23, v23, v25
	v_fma_f16 v25, v31, s7, -v30
	v_add_f16_e32 v9, v18, v7
	v_fma_f16 v7, v51, s14, v70
	v_add_f16_e32 v89, v89, v94
	v_mul_f16_e32 v94, 0xbb7b, v66
	v_add_f16_e32 v83, v83, v84
	v_fma_f16 v84, v62, s0, v93
	v_add_f16_e32 v71, v71, v78
	v_mul_f16_e32 v78, 0xbbf1, v33
	v_add_f16_e32 v23, v23, v25
	v_fma_f16 v25, v36, s6, -v35
	v_add_f16_e32 v7, v37, v7
	v_fma_f16 v8, v19, s17, v72
	v_add_f16_e32 v83, v83, v84
	v_fma_f16 v84, v65, s5, v94
	v_fma_f16 v79, v29, s4, v78
	v_mul_f16_e32 v80, 0xb3a8, v54
	v_add_f16_e32 v23, v23, v25
	v_fma_f16 v25, v27, s4, -v38
	v_add_f16_e32 v7, v7, v8
	v_fma_f16 v8, v20, s19, v73
	v_fma_f16 v95, v65, s5, -v94
	v_add_f16_e32 v83, v83, v84
	v_add_f16_e32 v79, v6, v79
	v_fma_f16 v84, v53, s7, v80
	v_add_f16_e32 v23, v23, v25
	v_fma_f16 v25, v28, s0, -v52
	v_add_f16_e32 v7, v7, v8
	v_fma_f16 v8, v21, s18, v74
	v_add_f16_e32 v89, v89, v95
	v_mul_f16_e32 v95, 0xb3a8, v51
	v_add_f16_e32 v79, v79, v84
	v_mul_f16_e32 v84, 0x3b7b, v57
	v_add_f16_e32 v23, v23, v25
	v_fma_f16 v25, v29, s1, v34
	v_add_f16_e32 v7, v7, v8
	v_fma_f16 v8, v22, s11, v76
	v_fma_f16 v96, v24, s7, v95
	v_mul_f16_e32 v97, 0x3770, v19
	v_fma_f16 v85, v56, s5, v84
	v_add_f16_e32 v25, v6, v25
	v_fma_f16 v30, v53, s5, v55
	v_add_f16_e32 v7, v7, v8
	;; [unrolled: 2-line block ×4, first 2 shown]
	v_mul_f16_e32 v85, 0x3770, v60
	v_add_f16_e32 v25, v25, v30
	v_fma_f16 v30, v56, s7, v58
	v_add_f16_e32 v10, v7, v8
	v_fma_f16 v7, v29, s4, -v78
	v_add_f16_e32 v96, v96, v98
	v_mul_f16_e32 v98, 0xb94e, v20
	v_fma_f16 v86, v59, s0, v85
	v_add_f16_e32 v25, v25, v30
	v_fma_f16 v30, v59, s6, v61
	v_add_f16_e32 v7, v6, v7
	v_fma_f16 v8, v53, s7, -v80
	v_fma_f16 v99, v31, s6, v98
	v_add_f16_e32 v79, v79, v86
	v_mul_f16_e32 v86, 0xba95, v63
	v_add_f16_e32 v25, v25, v30
	v_fma_f16 v30, v62, s4, v64
	v_add_f16_e32 v7, v7, v8
	v_fma_f16 v8, v56, s5, -v84
	v_add_f16_e32 v96, v96, v99
	v_mul_f16_e32 v99, 0x3a95, v21
	v_fma_f16 v95, v24, s7, -v95
	v_fma_f16 v87, v62, s1, v86
	v_add_f16_e32 v25, v25, v30
	v_fma_f16 v30, v65, s0, v67
	v_mul_f16_e32 v24, 0x3b15, v24
	v_add_f16_e32 v7, v7, v8
	v_fma_f16 v8, v59, s0, -v85
	v_fma_f16 v100, v36, s1, v99
	v_add_f16_e32 v95, v37, v95
	v_fma_f16 v97, v26, s0, -v97
	v_add_f16_e32 v79, v79, v87
	v_mul_f16_e32 v87, 0xb94e, v66
	v_add_f16_e32 v25, v25, v30
	v_fma_f16 v30, v51, s18, v24
	v_mul_f16_e32 v26, 0x388b, v26
	v_add_f16_e32 v7, v7, v8
	v_fma_f16 v8, v62, s1, -v86
	v_add_f16_e32 v96, v96, v100
	v_mul_f16_e32 v100, 0xbb7b, v22
	v_add_f16_e32 v95, v95, v97
	v_fma_f16 v97, v31, s6, -v98
	v_add_f16_e32 v30, v37, v30
	v_fma_f16 v34, v19, s20, v26
	v_mul_f16_e32 v31, 0x2fb7, v31
	v_add_f16_e32 v7, v7, v8
	v_fma_f16 v8, v65, s6, -v87
	v_fma_f16 v101, v27, s5, v100
	v_add_f16_e32 v30, v30, v34
	v_fma_f16 v34, v20, s21, v31
	v_add_f16_e32 v11, v7, v8
	;; [unrolled: 2-line block ×3, first 2 shown]
	v_mul_f16_e32 v101, 0x3bf1, v40
	v_add_f16_e32 v95, v95, v97
	v_fma_f16 v97, v36, s1, -v99
	v_add_f16_e32 v30, v30, v34
	v_mul_f16_e32 v34, 0xb5ac, v36
	v_add_f16_e32 v7, v37, v7
	v_fma_f16 v8, v19, s11, v26
	v_fma_f16 v102, v28, s4, v101
	v_add_f16_e32 v95, v95, v97
	v_fma_f16 v97, v27, s5, -v100
	v_fma_f16 v35, v21, s19, v34
	v_mul_f16_e32 v27, 0xb9fd, v27
	v_add_f16_e32 v7, v7, v8
	v_fma_f16 v8, v20, s14, v31
	v_add_f16_e32 v96, v96, v102
	v_mul_f16_e32 v102, 0xb3a8, v33
	v_add_f16_e32 v95, v95, v97
	v_fma_f16 v97, v28, s4, -v101
	v_add_f16_e32 v30, v30, v35
	v_fma_f16 v35, v22, s22, v27
	v_mul_f16_e32 v28, 0xbbc4, v28
	v_add_f16_e32 v7, v7, v8
	v_fma_f16 v8, v21, s15, v34
	v_fma_f16 v103, v29, s7, -v102
	v_mul_f16_e32 v104, 0x3770, v54
	v_add_f16_e32 v30, v30, v35
	v_fma_f16 v35, v40, s23, v28
	v_mul_f16_e32 v33, 0xb770, v33
	v_add_f16_e32 v7, v7, v8
	v_fma_f16 v8, v22, s16, v27
	v_add_f16_e32 v103, v6, v103
	v_fma_f16 v105, v53, s0, -v104
	v_add_f16_e32 v30, v30, v35
	v_fma_f16 v35, v29, s0, v33
	v_mul_f16_e32 v36, 0xba95, v54
	v_add_f16_e32 v7, v7, v8
	v_fma_f16 v8, v40, s17, v28
	v_add_f16_e32 v103, v103, v105
	v_mul_f16_e32 v105, 0xb94e, v57
	v_add_f16_e32 v95, v95, v97
	v_fma_f16 v97, v29, s7, v102
	v_add_f16_e32 v35, v6, v35
	v_fma_f16 v38, v53, s1, v36
	v_add_f16_e32 v12, v7, v8
	v_fma_f16 v7, v29, s0, -v33
	v_fma_f16 v106, v56, s6, -v105
	v_add_f16_e32 v97, v6, v97
	v_fma_f16 v98, v53, s0, v104
	v_add_f16_e32 v35, v35, v38
	v_mul_f16_e32 v38, 0xbbf1, v57
	v_add_f16_e32 v45, v6, v45
	v_add_f16_e32 v6, v6, v7
	v_fma_f16 v7, v53, s1, -v36
	v_add_f16_e32 v103, v103, v106
	v_mul_f16_e32 v106, 0x3a95, v60
	v_add_f16_e32 v97, v97, v98
	v_fma_f16 v98, v56, s6, v105
	v_fma_f16 v52, v56, s4, v38
	v_add_f16_e32 v6, v6, v7
	v_fma_f16 v7, v56, s4, -v38
	v_fma_f16 v107, v59, s1, -v106
	v_add_f16_e32 v97, v97, v98
	v_fma_f16 v98, v59, s1, v106
	v_add_f16_e32 v35, v35, v52
	v_mul_f16_e32 v52, 0xbb7b, v60
	v_add_f16_e32 v8, v6, v7
	v_mad_u64_u32 v[6:7], s[0:1], s2, v2, 0
	v_fma_f16 v54, v59, s5, v52
	v_add_f16_e32 v35, v35, v54
	v_mul_f16_e32 v54, 0xb94e, v63
	v_add_f16_e32 v45, v45, v48
	v_fma_f16 v55, v62, s6, v54
	v_add_f16_e32 v42, v45, v42
	v_fma_f16 v13, v59, s5, -v52
	v_add_f16_e32 v35, v35, v55
	v_mul_f16_e32 v55, 0xb3a8, v66
	v_add_f16_e32 v42, v42, v43
	v_add_f16_e32 v13, v8, v13
	v_fma_f16 v14, v62, s6, -v54
	v_mad_u64_u32 v[7:8], s[0:1], s3, v2, v[7:8]
	v_add_f16_e32 v42, v42, v44
	v_add_f16_e32 v8, v13, v14
	v_fma_f16 v13, v65, s7, -v55
	v_add_f16_e32 v32, v42, v32
	v_add_f16_e32 v13, v8, v13
	v_mov_b32_e32 v8, s13
	v_add_co_u32_e32 v14, vcc, s12, v0
	v_add_f16_e32 v32, v32, v39
	v_addc_co_u32_e32 v15, vcc, v8, v1, vcc
	v_add_u32_e32 v8, 0x5b, v2
	v_add_f16_e32 v32, v46, v32
	v_lshlrev_b64 v[0:1], 2, v[6:7]
	v_mad_u64_u32 v[6:7], s[0:1], s2, v8, 0
	v_add_f16_e32 v32, v47, v32
	v_add_f16_e32 v32, v49, v32
	;; [unrolled: 1-line block ×4, first 2 shown]
	v_mad_u64_u32 v[7:8], s[0:1], s3, v8, v[7:8]
	v_add_u32_e32 v17, 0xb6, v2
	v_pack_b32_f16 v16, v32, v9
	v_mad_u64_u32 v[8:9], s[0:1], s2, v17, 0
	v_add_co_u32_e32 v0, vcc, v14, v0
	v_addc_co_u32_e32 v1, vcc, v15, v1, vcc
	global_store_dword v[0:1], v16, off
	v_lshlrev_b64 v[0:1], 2, v[6:7]
	v_mov_b32_e32 v6, v9
	v_mad_u64_u32 v[6:7], s[0:1], s3, v17, v[6:7]
	v_fma_f16 v57, v65, s7, v55
	v_add_f16_e32 v35, v35, v57
	v_add_co_u32_e32 v0, vcc, v14, v0
	v_addc_co_u32_e32 v1, vcc, v15, v1, vcc
	v_pack_b32_f16 v7, v35, v30
	v_mov_b32_e32 v9, v6
	global_store_dword v[0:1], v7, off
	v_lshlrev_b64 v[0:1], 2, v[8:9]
	v_add_u32_e32 v8, 0x111, v2
	v_mad_u64_u32 v[6:7], s[0:1], s2, v8, 0
	v_add_u32_e32 v17, 0x16c, v2
	v_add_co_u32_e32 v0, vcc, v14, v0
	v_mad_u64_u32 v[7:8], s[0:1], s3, v8, v[7:8]
	v_mad_u64_u32 v[8:9], s[0:1], s2, v17, 0
	v_addc_co_u32_e32 v1, vcc, v15, v1, vcc
	v_pack_b32_f16 v16, v25, v23
	global_store_dword v[0:1], v16, off
	v_lshlrev_b64 v[0:1], 2, v[6:7]
	v_mov_b32_e32 v6, v9
	v_mad_u64_u32 v[6:7], s[0:1], s3, v17, v[6:7]
	v_fma_f16 v88, v65, s6, v87
	v_add_f16_e32 v79, v79, v88
	v_add_co_u32_e32 v0, vcc, v14, v0
	v_addc_co_u32_e32 v1, vcc, v15, v1, vcc
	v_pack_b32_f16 v7, v79, v71
	v_mov_b32_e32 v9, v6
	global_store_dword v[0:1], v7, off
	v_lshlrev_b64 v[0:1], 2, v[8:9]
	v_add_u32_e32 v8, 0x1c7, v2
	v_mad_u64_u32 v[6:7], s[0:1], s2, v8, 0
	v_add_u32_e32 v17, 0x222, v2
	v_add_co_u32_e32 v0, vcc, v14, v0
	v_mad_u64_u32 v[7:8], s[0:1], s3, v8, v[7:8]
	v_mad_u64_u32 v[8:9], s[0:1], s2, v17, 0
	v_addc_co_u32_e32 v1, vcc, v15, v1, vcc
	v_pack_b32_f16 v16, v69, v68
	global_store_dword v[0:1], v16, off
	v_lshlrev_b64 v[0:1], 2, v[6:7]
	v_mov_b32_e32 v6, v9
	v_mad_u64_u32 v[6:7], s[0:1], s3, v17, v[6:7]
	v_add_co_u32_e32 v0, vcc, v14, v0
	v_addc_co_u32_e32 v1, vcc, v15, v1, vcc
	v_pack_b32_f16 v7, v83, v81
	v_mov_b32_e32 v9, v6
	global_store_dword v[0:1], v7, off
	v_lshlrev_b64 v[0:1], 2, v[8:9]
	v_add_u32_e32 v8, 0x27d, v2
	v_mad_u64_u32 v[6:7], s[0:1], s2, v8, 0
	v_add_f16_e32 v103, v103, v107
	v_mul_f16_e32 v107, 0xbb7b, v63
	v_fma_f16 v108, v62, s5, -v107
	v_mad_u64_u32 v[7:8], s[0:1], s3, v8, v[7:8]
	v_add_u32_e32 v17, 0x2d8, v2
	v_add_f16_e32 v103, v103, v108
	v_mul_f16_e32 v108, 0x3bf1, v66
	v_add_f16_e32 v97, v97, v98
	v_fma_f16 v98, v62, s5, v107
	v_mad_u64_u32 v[8:9], s[0:1], s2, v17, 0
	v_add_f16_e32 v97, v97, v98
	v_fma_f16 v98, v65, s4, v108
	v_add_f16_e32 v97, v97, v98
	v_add_co_u32_e32 v0, vcc, v14, v0
	v_addc_co_u32_e32 v1, vcc, v15, v1, vcc
	v_pack_b32_f16 v16, v97, v95
	global_store_dword v[0:1], v16, off
	v_lshlrev_b64 v[0:1], 2, v[6:7]
	v_mov_b32_e32 v6, v9
	v_mad_u64_u32 v[6:7], s[0:1], s3, v17, v[6:7]
	v_fma_f16 v109, v65, s4, -v108
	v_add_f16_e32 v103, v103, v109
	v_add_co_u32_e32 v0, vcc, v14, v0
	v_addc_co_u32_e32 v1, vcc, v15, v1, vcc
	v_pack_b32_f16 v7, v103, v96
	v_mov_b32_e32 v9, v6
	global_store_dword v[0:1], v7, off
	v_lshlrev_b64 v[0:1], 2, v[8:9]
	v_add_u32_e32 v8, 0x333, v2
	v_mad_u64_u32 v[6:7], s[0:1], s2, v8, 0
	v_add_u32_e32 v17, 0x38e, v2
	v_add_co_u32_e32 v0, vcc, v14, v0
	v_mad_u64_u32 v[7:8], s[0:1], s3, v8, v[7:8]
	v_mad_u64_u32 v[8:9], s[0:1], s2, v17, 0
	v_addc_co_u32_e32 v1, vcc, v15, v1, vcc
	v_pack_b32_f16 v16, v89, v82
	global_store_dword v[0:1], v16, off
	v_lshlrev_b64 v[0:1], 2, v[6:7]
	v_mov_b32_e32 v6, v9
	v_mad_u64_u32 v[6:7], s[0:1], s3, v17, v[6:7]
	v_add_co_u32_e32 v0, vcc, v14, v0
	v_addc_co_u32_e32 v1, vcc, v15, v1, vcc
	v_pack_b32_f16 v5, v75, v5
	v_add_u32_e32 v7, 0x3e9, v2
	global_store_dword v[0:1], v5, off
	v_mov_b32_e32 v9, v6
	v_mad_u64_u32 v[5:6], s[0:1], s2, v7, 0
	v_lshlrev_b64 v[0:1], 2, v[8:9]
	v_pack_b32_f16 v9, v11, v10
	v_mad_u64_u32 v[6:7], s[0:1], s3, v7, v[6:7]
	v_add_u32_e32 v10, 0x444, v2
	v_mad_u64_u32 v[7:8], s[0:1], s2, v10, 0
	v_add_co_u32_e32 v0, vcc, v14, v0
	v_addc_co_u32_e32 v1, vcc, v15, v1, vcc
	v_mov_b32_e32 v2, v8
	global_store_dword v[0:1], v9, off
	v_lshlrev_b64 v[0:1], 2, v[5:6]
	v_mad_u64_u32 v[5:6], s[0:1], s3, v10, v[2:3]
	v_add_co_u32_e32 v0, vcc, v14, v0
	v_addc_co_u32_e32 v1, vcc, v15, v1, vcc
	v_pack_b32_f16 v2, v4, v3
	v_mov_b32_e32 v8, v5
	global_store_dword v[0:1], v2, off
	v_lshlrev_b64 v[0:1], 2, v[7:8]
	v_pack_b32_f16 v2, v13, v12
	v_add_co_u32_e32 v0, vcc, v14, v0
	v_addc_co_u32_e32 v1, vcc, v15, v1, vcc
	global_store_dword v[0:1], v2, off
.LBB0_19:
	s_endpgm
	.section	.rodata,"a",@progbits
	.p2align	6, 0x0
	.amdhsa_kernel fft_rtc_back_len1183_factors_7_13_13_wgs_182_tpt_91_halfLds_half_ip_CI_sbrr_dirReg
		.amdhsa_group_segment_fixed_size 0
		.amdhsa_private_segment_fixed_size 0
		.amdhsa_kernarg_size 88
		.amdhsa_user_sgpr_count 6
		.amdhsa_user_sgpr_private_segment_buffer 1
		.amdhsa_user_sgpr_dispatch_ptr 0
		.amdhsa_user_sgpr_queue_ptr 0
		.amdhsa_user_sgpr_kernarg_segment_ptr 1
		.amdhsa_user_sgpr_dispatch_id 0
		.amdhsa_user_sgpr_flat_scratch_init 0
		.amdhsa_user_sgpr_private_segment_size 0
		.amdhsa_uses_dynamic_stack 0
		.amdhsa_system_sgpr_private_segment_wavefront_offset 0
		.amdhsa_system_sgpr_workgroup_id_x 1
		.amdhsa_system_sgpr_workgroup_id_y 0
		.amdhsa_system_sgpr_workgroup_id_z 0
		.amdhsa_system_sgpr_workgroup_info 0
		.amdhsa_system_vgpr_workitem_id 0
		.amdhsa_next_free_vgpr 110
		.amdhsa_next_free_sgpr 26
		.amdhsa_reserve_vcc 1
		.amdhsa_reserve_flat_scratch 0
		.amdhsa_float_round_mode_32 0
		.amdhsa_float_round_mode_16_64 0
		.amdhsa_float_denorm_mode_32 3
		.amdhsa_float_denorm_mode_16_64 3
		.amdhsa_dx10_clamp 1
		.amdhsa_ieee_mode 1
		.amdhsa_fp16_overflow 0
		.amdhsa_exception_fp_ieee_invalid_op 0
		.amdhsa_exception_fp_denorm_src 0
		.amdhsa_exception_fp_ieee_div_zero 0
		.amdhsa_exception_fp_ieee_overflow 0
		.amdhsa_exception_fp_ieee_underflow 0
		.amdhsa_exception_fp_ieee_inexact 0
		.amdhsa_exception_int_div_zero 0
	.end_amdhsa_kernel
	.text
.Lfunc_end0:
	.size	fft_rtc_back_len1183_factors_7_13_13_wgs_182_tpt_91_halfLds_half_ip_CI_sbrr_dirReg, .Lfunc_end0-fft_rtc_back_len1183_factors_7_13_13_wgs_182_tpt_91_halfLds_half_ip_CI_sbrr_dirReg
                                        ; -- End function
	.section	.AMDGPU.csdata,"",@progbits
; Kernel info:
; codeLenInByte = 10964
; NumSgprs: 30
; NumVgprs: 110
; ScratchSize: 0
; MemoryBound: 0
; FloatMode: 240
; IeeeMode: 1
; LDSByteSize: 0 bytes/workgroup (compile time only)
; SGPRBlocks: 3
; VGPRBlocks: 27
; NumSGPRsForWavesPerEU: 30
; NumVGPRsForWavesPerEU: 110
; Occupancy: 2
; WaveLimiterHint : 1
; COMPUTE_PGM_RSRC2:SCRATCH_EN: 0
; COMPUTE_PGM_RSRC2:USER_SGPR: 6
; COMPUTE_PGM_RSRC2:TRAP_HANDLER: 0
; COMPUTE_PGM_RSRC2:TGID_X_EN: 1
; COMPUTE_PGM_RSRC2:TGID_Y_EN: 0
; COMPUTE_PGM_RSRC2:TGID_Z_EN: 0
; COMPUTE_PGM_RSRC2:TIDIG_COMP_CNT: 0
	.type	__hip_cuid_d5ddb2346c61f823,@object ; @__hip_cuid_d5ddb2346c61f823
	.section	.bss,"aw",@nobits
	.globl	__hip_cuid_d5ddb2346c61f823
__hip_cuid_d5ddb2346c61f823:
	.byte	0                               ; 0x0
	.size	__hip_cuid_d5ddb2346c61f823, 1

	.ident	"AMD clang version 19.0.0git (https://github.com/RadeonOpenCompute/llvm-project roc-6.4.0 25133 c7fe45cf4b819c5991fe208aaa96edf142730f1d)"
	.section	".note.GNU-stack","",@progbits
	.addrsig
	.addrsig_sym __hip_cuid_d5ddb2346c61f823
	.amdgpu_metadata
---
amdhsa.kernels:
  - .args:
      - .actual_access:  read_only
        .address_space:  global
        .offset:         0
        .size:           8
        .value_kind:     global_buffer
      - .offset:         8
        .size:           8
        .value_kind:     by_value
      - .actual_access:  read_only
        .address_space:  global
        .offset:         16
        .size:           8
        .value_kind:     global_buffer
      - .actual_access:  read_only
        .address_space:  global
        .offset:         24
        .size:           8
        .value_kind:     global_buffer
      - .offset:         32
        .size:           8
        .value_kind:     by_value
      - .actual_access:  read_only
        .address_space:  global
        .offset:         40
        .size:           8
        .value_kind:     global_buffer
      - .actual_access:  read_only
        .address_space:  global
        .offset:         48
        .size:           8
        .value_kind:     global_buffer
      - .offset:         56
        .size:           4
        .value_kind:     by_value
      - .actual_access:  read_only
        .address_space:  global
        .offset:         64
        .size:           8
        .value_kind:     global_buffer
      - .actual_access:  read_only
        .address_space:  global
        .offset:         72
        .size:           8
        .value_kind:     global_buffer
      - .address_space:  global
        .offset:         80
        .size:           8
        .value_kind:     global_buffer
    .group_segment_fixed_size: 0
    .kernarg_segment_align: 8
    .kernarg_segment_size: 88
    .language:       OpenCL C
    .language_version:
      - 2
      - 0
    .max_flat_workgroup_size: 182
    .name:           fft_rtc_back_len1183_factors_7_13_13_wgs_182_tpt_91_halfLds_half_ip_CI_sbrr_dirReg
    .private_segment_fixed_size: 0
    .sgpr_count:     30
    .sgpr_spill_count: 0
    .symbol:         fft_rtc_back_len1183_factors_7_13_13_wgs_182_tpt_91_halfLds_half_ip_CI_sbrr_dirReg.kd
    .uniform_work_group_size: 1
    .uses_dynamic_stack: false
    .vgpr_count:     110
    .vgpr_spill_count: 0
    .wavefront_size: 64
amdhsa.target:   amdgcn-amd-amdhsa--gfx906
amdhsa.version:
  - 1
  - 2
...

	.end_amdgpu_metadata
